;; amdgpu-corpus repo=ROCm/MIOpen kind=compiled arch=gfx906 opt=O3
	.amdgcn_target "amdgcn-amd-amdhsa--gfx906"
	.amdhsa_code_object_version 6
	.text
	.protected	GroupNormFwdContiguous  ; -- Begin function GroupNormFwdContiguous
	.globl	GroupNormFwdContiguous
	.p2align	8
	.type	GroupNormFwdContiguous,@function
GroupNormFwdContiguous:                 ; @GroupNormFwdContiguous
; %bb.0:
	s_load_dwordx4 s[8:11], s[4:5], 0x38
	s_load_dwordx2 s[20:21], s[4:5], 0x48
	s_waitcnt lgkmcnt(0)
	s_mul_i32 s0, s20, s11
	s_mul_hi_u32 s1, s20, s10
	s_add_i32 s0, s1, s0
	s_mul_i32 s1, s21, s10
	s_add_i32 s1, s0, s1
	s_mul_i32 s0, s20, s10
	s_or_b64 s[2:3], s[0:1], s[8:9]
	s_mov_b32 s2, 0
	s_cmp_lg_u64 s[2:3], 0
	s_cbranch_scc0 .LBB0_46
; %bb.1:
	v_cvt_f32_u32_e32 v1, s8
	v_cvt_f32_u32_e32 v2, s9
	s_sub_u32 s7, 0, s8
	s_subb_u32 s14, 0, s9
	v_madmk_f32 v1, v2, 0x4f800000, v1
	v_rcp_f32_e32 v1, v1
	v_mul_f32_e32 v1, 0x5f7ffffc, v1
	v_mul_f32_e32 v2, 0x2f800000, v1
	v_trunc_f32_e32 v2, v2
	v_madmk_f32 v1, v2, 0xcf800000, v1
	v_cvt_u32_f32_e32 v2, v2
	v_cvt_u32_f32_e32 v1, v1
	v_readfirstlane_b32 s15, v2
	v_readfirstlane_b32 s12, v1
	s_mul_i32 s13, s7, s15
	s_mul_hi_u32 s17, s7, s12
	s_mul_i32 s16, s14, s12
	s_add_i32 s13, s17, s13
	s_add_i32 s13, s13, s16
	s_mul_i32 s18, s7, s12
	s_mul_i32 s17, s12, s13
	s_mul_hi_u32 s19, s12, s18
	s_mul_hi_u32 s16, s12, s13
	s_add_u32 s17, s19, s17
	s_addc_u32 s16, 0, s16
	s_mul_hi_u32 s22, s15, s18
	s_mul_i32 s18, s15, s18
	s_add_u32 s17, s17, s18
	s_mul_hi_u32 s19, s15, s13
	s_addc_u32 s16, s16, s22
	s_addc_u32 s17, s19, 0
	s_mul_i32 s13, s15, s13
	s_add_u32 s13, s16, s13
	s_addc_u32 s16, 0, s17
	s_add_u32 s17, s12, s13
	s_cselect_b64 s[12:13], -1, 0
	s_cmp_lg_u64 s[12:13], 0
	s_addc_u32 s15, s15, s16
	s_mul_i32 s12, s7, s15
	s_mul_hi_u32 s13, s7, s17
	s_add_i32 s12, s13, s12
	s_mul_i32 s14, s14, s17
	s_add_i32 s12, s12, s14
	s_mul_i32 s7, s7, s17
	s_mul_hi_u32 s14, s15, s7
	s_mul_i32 s16, s15, s7
	s_mul_i32 s19, s17, s12
	s_mul_hi_u32 s7, s17, s7
	s_mul_hi_u32 s18, s17, s12
	s_add_u32 s7, s7, s19
	s_addc_u32 s18, 0, s18
	s_add_u32 s7, s7, s16
	s_mul_hi_u32 s13, s15, s12
	s_addc_u32 s7, s18, s14
	s_addc_u32 s13, s13, 0
	s_mul_i32 s12, s15, s12
	s_add_u32 s7, s7, s12
	s_addc_u32 s14, 0, s13
	s_add_u32 s7, s17, s7
	s_cselect_b64 s[12:13], -1, 0
	s_cmp_lg_u64 s[12:13], 0
	s_addc_u32 s12, s15, s14
	s_mul_i32 s14, s0, s12
	s_mul_hi_u32 s15, s0, s7
	s_mul_hi_u32 s13, s0, s12
	s_add_u32 s14, s15, s14
	s_addc_u32 s13, 0, s13
	s_mul_hi_u32 s16, s1, s7
	s_mul_i32 s7, s1, s7
	s_add_u32 s7, s14, s7
	s_mul_hi_u32 s15, s1, s12
	s_addc_u32 s7, s13, s16
	s_addc_u32 s13, s15, 0
	s_mul_i32 s12, s1, s12
	s_add_u32 s7, s7, s12
	s_addc_u32 s16, 0, s13
	s_mul_i32 s12, s8, s16
	s_mul_hi_u32 s13, s8, s7
	s_add_i32 s12, s13, s12
	s_mul_i32 s13, s9, s7
	s_add_i32 s17, s12, s13
	s_sub_i32 s14, s1, s17
	s_mul_i32 s12, s8, s7
	s_sub_u32 s18, s0, s12
	s_cselect_b64 s[12:13], -1, 0
	s_cmp_lg_u64 s[12:13], 0
	s_subb_u32 s19, s14, s9
	s_sub_u32 s22, s18, s8
	s_cselect_b64 s[14:15], -1, 0
	s_cmp_lg_u64 s[14:15], 0
	s_subb_u32 s14, s19, 0
	s_cmp_ge_u32 s14, s9
	s_cselect_b32 s15, -1, 0
	s_cmp_ge_u32 s22, s8
	s_cselect_b32 s19, -1, 0
	s_cmp_eq_u32 s14, s9
	s_cselect_b32 s14, s19, s15
	s_add_u32 s15, s7, 1
	s_addc_u32 s19, s16, 0
	s_add_u32 s22, s7, 2
	s_addc_u32 s23, s16, 0
	s_cmp_lg_u32 s14, 0
	s_cselect_b32 s14, s22, s15
	s_cselect_b32 s15, s23, s19
	s_cmp_lg_u64 s[12:13], 0
	s_subb_u32 s1, s1, s17
	s_cmp_ge_u32 s1, s9
	s_cselect_b32 s12, -1, 0
	s_cmp_ge_u32 s18, s8
	s_cselect_b32 s13, -1, 0
	s_cmp_eq_u32 s1, s9
	s_cselect_b32 s1, s13, s12
	s_cmp_lg_u32 s1, 0
	s_cselect_b32 s23, s15, s16
	s_cselect_b32 s22, s14, s7
	s_load_dwordx2 s[24:25], s[4:5], 0x0
	s_cbranch_execnz .LBB0_3
.LBB0_2:
	v_cvt_f32_u32_e32 v1, s8
	s_sub_i32 s1, 0, s8
	s_mov_b32 s23, 0
	v_rcp_iflag_f32_e32 v1, v1
	v_mul_f32_e32 v1, 0x4f7ffffe, v1
	v_cvt_u32_f32_e32 v1, v1
	v_readfirstlane_b32 s2, v1
	s_mul_i32 s1, s1, s2
	s_mul_hi_u32 s1, s2, s1
	s_add_i32 s2, s2, s1
	s_mul_hi_u32 s1, s0, s2
	s_mul_i32 s3, s1, s8
	s_sub_i32 s0, s0, s3
	s_add_i32 s2, s1, 1
	s_sub_i32 s3, s0, s8
	s_cmp_ge_u32 s0, s8
	s_cselect_b32 s1, s2, s1
	s_cselect_b32 s0, s3, s0
	s_add_i32 s2, s1, 1
	s_cmp_ge_u32 s0, s8
	s_cselect_b32 s22, s2, s1
.LBB0_3:
	s_load_dwordx8 s[12:19], s[4:5], 0x8
	s_load_dwordx2 s[28:29], s[4:5], 0x28
	v_mov_b32_e32 v1, 0
	v_cmp_gt_u64_e64 s[0:1], s[22:23], v[0:1]
	s_mov_b32 s7, 0
	s_mul_i32 s30, s23, s6
	s_mul_hi_u32 s31, s22, s6
	s_mul_i32 s26, s22, s6
	v_mov_b32_e32 v4, v1
	v_mov_b32_e32 v5, v1
	s_and_saveexec_b64 s[2:3], s[0:1]
	s_cbranch_execz .LBB0_7
; %bb.4:
	s_add_i32 s27, s31, s30
	s_lshl_b64 s[8:9], s[26:27], 2
	s_waitcnt lgkmcnt(0)
	s_add_u32 s27, s24, s8
	s_addc_u32 s33, s25, s9
	v_mov_b32_e32 v3, v1
	v_mov_b32_e32 v4, 0
	s_mov_b64 s[8:9], 0
	v_mov_b32_e32 v6, s33
	v_mov_b32_e32 v5, 0
	;; [unrolled: 1-line block ×3, first 2 shown]
.LBB0_5:                                ; =>This Inner Loop Header: Depth=1
	v_lshlrev_b64 v[7:8], 2, v[2:3]
	v_add_co_u32_e32 v7, vcc, s27, v7
	v_addc_co_u32_e32 v8, vcc, v6, v8, vcc
	global_load_dword v7, v[7:8], off
	v_add_co_u32_e32 v2, vcc, 0x100, v2
	v_addc_co_u32_e32 v3, vcc, 0, v3, vcc
	v_cmp_le_u64_e32 vcc, s[22:23], v[2:3]
	s_or_b64 s[8:9], vcc, s[8:9]
	s_waitcnt vmcnt(0)
	v_add_f32_e32 v4, v4, v7
	v_fmac_f32_e32 v5, v7, v7
	s_andn2_b64 exec, exec, s[8:9]
	s_cbranch_execnz .LBB0_5
; %bb.6:
	s_or_b64 exec, exec, s[8:9]
.LBB0_7:
	s_or_b64 exec, exec, s[2:3]
	v_lshlrev_b32_e32 v2, 2, v0
	s_movk_i32 s2, 0x80
	v_add_u32_e32 v3, 0x400, v2
	v_cmp_gt_u32_e32 vcc, s2, v0
	ds_write2st64_b32 v2, v4, v5 offset1:4
	s_waitcnt lgkmcnt(0)
	s_barrier
	s_and_saveexec_b64 s[2:3], vcc
	s_cbranch_execz .LBB0_9
; %bb.8:
	ds_read2st64_b32 v[4:5], v2 offset1:2
	ds_read2st64_b32 v[6:7], v3 offset1:2
	s_waitcnt lgkmcnt(1)
	v_add_f32_e32 v4, v5, v4
	s_waitcnt lgkmcnt(0)
	v_add_f32_e32 v5, v7, v6
	ds_write_b32 v2, v4
	ds_write_b32 v3, v5
.LBB0_9:
	s_or_b64 exec, exec, s[2:3]
	v_cmp_gt_u32_e32 vcc, 64, v0
	s_waitcnt lgkmcnt(0)
	s_barrier
	s_and_saveexec_b64 s[2:3], vcc
	s_cbranch_execz .LBB0_11
; %bb.10:
	ds_read2st64_b32 v[4:5], v2 offset1:1
	ds_read2st64_b32 v[6:7], v3 offset1:1
	s_waitcnt lgkmcnt(1)
	v_add_f32_e32 v4, v5, v4
	s_waitcnt lgkmcnt(0)
	v_add_f32_e32 v5, v7, v6
	ds_write_b32 v2, v4
	ds_write_b32 v3, v5
.LBB0_11:
	s_or_b64 exec, exec, s[2:3]
	v_cmp_gt_u32_e32 vcc, 32, v0
	s_waitcnt lgkmcnt(0)
	s_barrier
	s_and_saveexec_b64 s[2:3], vcc
	s_cbranch_execz .LBB0_13
; %bb.12:
	ds_read2_b32 v[4:5], v2 offset1:32
	ds_read2_b32 v[6:7], v3 offset1:32
	s_waitcnt lgkmcnt(1)
	v_add_f32_e32 v4, v5, v4
	s_waitcnt lgkmcnt(0)
	v_add_f32_e32 v5, v7, v6
	ds_write_b32 v2, v4
	ds_write_b32 v3, v5
.LBB0_13:
	s_or_b64 exec, exec, s[2:3]
	v_cmp_gt_u32_e32 vcc, 16, v0
	s_waitcnt lgkmcnt(0)
	s_barrier
	s_and_saveexec_b64 s[2:3], vcc
	s_cbranch_execz .LBB0_15
; %bb.14:
	ds_read2_b32 v[4:5], v2 offset1:16
	ds_read2_b32 v[6:7], v3 offset1:16
	s_waitcnt lgkmcnt(1)
	v_add_f32_e32 v4, v5, v4
	s_waitcnt lgkmcnt(0)
	v_add_f32_e32 v5, v7, v6
	ds_write_b32 v2, v4
	ds_write_b32 v3, v5
.LBB0_15:
	;; [unrolled: 16-line block ×5, first 2 shown]
	s_or_b64 exec, exec, s[2:3]
	v_cmp_eq_u32_e64 s[2:3], 0, v0
	s_waitcnt lgkmcnt(0)
	s_barrier
	s_and_saveexec_b64 s[8:9], s[2:3]
	s_cbranch_execz .LBB0_23
; %bb.22:
	v_add_u32_e64 v4, 4, 0
	ds_read2st64_b32 v[4:5], v4 offset1:4
	ds_read_b32 v6, v2
	ds_read_b32 v7, v3
	s_waitcnt lgkmcnt(1)
	v_add_f32_e32 v4, v4, v6
	s_waitcnt lgkmcnt(0)
	v_add_f32_e32 v5, v5, v7
	ds_write_b32 v2, v4
	ds_write_b32 v3, v5
.LBB0_23:
	s_or_b64 exec, exec, s[8:9]
	s_flbit_i32_b32 s8, s23
	s_min_u32 s27, s8, 32
	s_lshl_b64 s[8:9], s[22:23], s27
	s_min_u32 s8, s8, 1
	v_mov_b32_e32 v2, 0
	s_or_b32 s8, s9, s8
	s_waitcnt lgkmcnt(0)
	s_barrier
	v_cvt_f32_u32_e32 v4, s8
	ds_read2st64_b32 v[2:3], v2 offset1:4
	s_sub_i32 s8, 32, s27
	v_ldexp_f32 v4, v4, s8
	s_waitcnt lgkmcnt(0)
	v_div_scale_f32 v5, s[8:9], v4, v4, v2
	v_div_scale_f32 v6, s[8:9], v4, v4, v3
	v_div_scale_f32 v7, vcc, v2, v4, v2
	v_div_scale_f32 v8, s[8:9], v3, v4, v3
	v_rcp_f32_e32 v9, v5
	v_rcp_f32_e32 v10, v6
	v_fma_f32 v11, -v5, v9, 1.0
	v_fmac_f32_e32 v9, v11, v9
	v_fma_f32 v12, -v6, v10, 1.0
	v_fmac_f32_e32 v10, v12, v10
	v_mul_f32_e32 v11, v7, v9
	v_mul_f32_e32 v12, v8, v10
	v_fma_f32 v13, -v5, v11, v7
	v_fma_f32 v14, -v6, v12, v8
	v_fmac_f32_e32 v11, v13, v9
	v_fmac_f32_e32 v12, v14, v10
	v_fma_f32 v5, -v5, v11, v7
	v_fma_f32 v6, -v6, v12, v8
	v_div_fmas_f32 v5, v5, v9, v11
	s_mov_b64 vcc, s[8:9]
	v_div_fmas_f32 v6, v6, v10, v12
	s_load_dword s8, s[4:5], 0x30
	v_mov_b32_e32 v8, 0x180
	v_div_fixup_f32 v10, v5, v4, v2
	v_div_fixup_f32 v2, v6, v4, v3
	v_fma_f32 v2, -v10, v10, v2
	s_waitcnt lgkmcnt(0)
	v_add_f32_e32 v2, s8, v2
	v_cvt_f64_f32_e32 v[2:3], v2
	s_mov_b32 s8, 0
	s_mov_b32 s9, 0x3fd80000
	v_rsq_f64_e32 v[4:5], v[2:3]
	v_mul_f64 v[2:3], v[4:5], -v[2:3]
	v_cmp_class_f64_e32 vcc, v[4:5], v8
	v_fma_f64 v[2:3], v[2:3], v[4:5], 1.0
	v_mul_f64 v[6:7], v[4:5], v[2:3]
	v_fma_f64 v[2:3], v[2:3], s[8:9], 0.5
	v_fma_f64 v[2:3], v[6:7], v[2:3], v[4:5]
	v_cndmask_b32_e32 v3, v5, v3, vcc
	v_cndmask_b32_e32 v2, v4, v2, vcc
	v_cvt_f32_f64_e32 v11, v[2:3]
	s_and_saveexec_b64 s[8:9], s[2:3]
	s_cbranch_execz .LBB0_28
; %bb.24:
	s_cmp_eq_u64 s[18:19], 0
	s_cbranch_scc1 .LBB0_26
; %bb.25:
	s_lshl_b64 s[2:3], s[6:7], 2
	s_add_u32 s2, s18, s2
	s_addc_u32 s3, s19, s3
	v_mov_b32_e32 v2, 0
	global_store_dword v2, v10, s[2:3]
.LBB0_26:
	s_cmp_eq_u64 s[28:29], 0
	s_cbranch_scc1 .LBB0_28
; %bb.27:
	s_lshl_b64 s[2:3], s[6:7], 2
	s_add_u32 s2, s28, s2
	s_addc_u32 s3, s29, s3
	v_mov_b32_e32 v2, 0
	global_store_dword v2, v11, s[2:3]
.LBB0_28:
	s_or_b64 exec, exec, s[8:9]
	s_and_saveexec_b64 s[2:3], s[0:1]
	s_cbranch_execz .LBB0_45
; %bb.29:
	v_cvt_f32_u32_e32 v2, s20
	v_cvt_f32_u32_e32 v3, s21
	s_load_dword s0, s[4:5], 0x50
	s_mov_b64 s[6:7], 0
	v_mac_f32_e32 v2, 0x4f800000, v3
	v_rcp_f32_e32 v2, v2
	s_waitcnt lgkmcnt(0)
	s_bitcmp1_b32 s0, 0
	s_cselect_b64 s[0:1], -1, 0
	s_add_i32 s2, s31, s30
	v_mul_f32_e32 v2, 0x5f7ffffc, v2
	v_mul_f32_e32 v4, 0x2f800000, v2
	v_trunc_f32_e32 v4, v4
	v_mac_f32_e32 v2, 0xcf800000, v4
	v_cvt_u32_f32_e32 v13, v2
	v_cvt_u32_f32_e32 v14, v4
	v_cndmask_b32_e64 v3, 0, 1, s[0:1]
	v_mov_b32_e32 v12, s2
	v_cmp_ne_u32_e64 s[0:1], 1, v3
	v_mov_b32_e32 v2, 0
	s_sub_i32 s18, 0, s20
	s_branch .LBB0_31
.LBB0_30:                               ;   in Loop: Header=BB0_31 Depth=1
	v_lshlrev_b64 v[4:5], 2, v[4:5]
	v_mov_b32_e32 v7, s25
	v_add_co_u32_e32 v6, vcc, s24, v4
	v_addc_co_u32_e32 v7, vcc, v7, v5, vcc
	global_load_dword v6, v[6:7], off
	v_add_co_u32_e32 v0, vcc, 0x100, v0
	v_addc_co_u32_e32 v1, vcc, 0, v1, vcc
	v_mov_b32_e32 v7, s17
	v_add_co_u32_e32 v4, vcc, s16, v4
	v_addc_co_u32_e32 v5, vcc, v7, v5, vcc
	v_cmp_le_u64_e32 vcc, s[22:23], v[0:1]
	s_or_b64 s[6:7], vcc, s[6:7]
	s_waitcnt vmcnt(0)
	v_sub_f32_e32 v6, v6, v10
	v_mul_f32_e32 v6, v6, v11
	v_fmac_f32_e32 v8, v3, v6
	global_store_dword v[4:5], v8, off
	s_andn2_b64 exec, exec, s[6:7]
	s_cbranch_execz .LBB0_45
.LBB0_31:                               ; =>This Inner Loop Header: Depth=1
	v_mov_b32_e32 v8, 0
	v_add_co_u32_e64 v4, s[2:3], s26, v0
	v_mov_b32_e32 v9, 0
	s_and_b64 vcc, exec, s[0:1]
	v_addc_co_u32_e64 v5, s[2:3], v1, v12, s[2:3]
	s_cbranch_vccz .LBB0_34
; %bb.32:                               ;   in Loop: Header=BB0_31 Depth=1
	v_lshlrev_b64 v[6:7], 2, v[8:9]
	s_and_b64 vcc, exec, s[0:1]
	v_mov_b32_e32 v3, 1.0
	s_cbranch_vccz .LBB0_43
.LBB0_33:                               ;   in Loop: Header=BB0_31 Depth=1
	s_and_b64 vcc, exec, s[0:1]
	v_mov_b32_e32 v8, 0
	s_cbranch_vccnz .LBB0_30
	s_branch .LBB0_44
.LBB0_34:                               ;   in Loop: Header=BB0_31 Depth=1
	v_or_b32_e32 v3, s21, v5
	v_cmp_ne_u64_e32 vcc, 0, v[2:3]
                                        ; implicit-def: $vgpr6_vgpr7
	s_and_saveexec_b64 s[2:3], vcc
	s_xor_b64 s[4:5], exec, s[2:3]
	s_cbranch_execz .LBB0_36
; %bb.35:                               ;   in Loop: Header=BB0_31 Depth=1
	s_sub_u32 s8, 0, s20
	v_readfirstlane_b32 s2, v13
	v_readfirstlane_b32 s27, v14
	s_subb_u32 s9, 0, s21
	s_mul_hi_u32 s19, s8, s2
	s_mul_i32 s28, s8, s27
	s_mul_i32 s3, s9, s2
	s_add_i32 s19, s19, s28
	s_add_i32 s19, s19, s3
	s_mul_i32 s29, s8, s2
	s_mul_i32 s28, s2, s19
	s_mul_hi_u32 s30, s2, s29
	s_mul_hi_u32 s3, s2, s19
	s_add_u32 s28, s30, s28
	s_addc_u32 s3, 0, s3
	s_mul_hi_u32 s31, s27, s29
	s_mul_i32 s29, s27, s29
	s_add_u32 s28, s28, s29
	s_mul_hi_u32 s30, s27, s19
	s_addc_u32 s3, s3, s31
	s_addc_u32 s28, s30, 0
	s_mul_i32 s19, s27, s19
	s_add_u32 s3, s3, s19
	s_addc_u32 s19, 0, s28
	s_add_u32 s28, s2, s3
	s_cselect_b64 s[2:3], -1, 0
	s_cmp_lg_u64 s[2:3], 0
	s_addc_u32 s19, s27, s19
	s_mul_i32 s2, s8, s19
	s_mul_hi_u32 s3, s8, s28
	s_add_i32 s2, s3, s2
	s_mul_i32 s9, s9, s28
	s_add_i32 s2, s2, s9
	s_mul_i32 s8, s8, s28
	s_mul_hi_u32 s9, s19, s8
	s_mul_i32 s27, s19, s8
	s_mul_i32 s30, s28, s2
	s_mul_hi_u32 s8, s28, s8
	s_mul_hi_u32 s29, s28, s2
	s_add_u32 s8, s8, s30
	s_addc_u32 s29, 0, s29
	s_add_u32 s8, s8, s27
	s_mul_hi_u32 s3, s19, s2
	s_addc_u32 s8, s29, s9
	s_addc_u32 s3, s3, 0
	s_mul_i32 s2, s19, s2
	s_add_u32 s2, s8, s2
	s_addc_u32 s8, 0, s3
	s_add_u32 s9, s28, s2
	s_cselect_b64 s[2:3], -1, 0
	s_cmp_lg_u64 s[2:3], 0
	s_addc_u32 s8, s19, s8
	v_mad_u64_u32 v[6:7], s[2:3], v4, s8, 0
	v_mul_hi_u32 v3, v4, s9
	v_mad_u64_u32 v[8:9], s[2:3], v5, s8, 0
	v_add_co_u32_e32 v3, vcc, v3, v6
	v_addc_co_u32_e32 v15, vcc, 0, v7, vcc
	v_mad_u64_u32 v[6:7], s[2:3], v5, s9, 0
	v_add_co_u32_e32 v3, vcc, v3, v6
	v_addc_co_u32_e32 v3, vcc, v15, v7, vcc
	v_addc_co_u32_e32 v6, vcc, 0, v9, vcc
	v_add_co_u32_e32 v3, vcc, v3, v8
	v_addc_co_u32_e32 v8, vcc, 0, v6, vcc
	v_mul_lo_u32 v9, s21, v3
	v_mul_lo_u32 v15, s20, v8
	v_mad_u64_u32 v[6:7], s[2:3], s20, v3, 0
	v_add3_u32 v7, v7, v15, v9
	v_sub_u32_e32 v9, v5, v7
	v_mov_b32_e32 v15, s21
	v_sub_co_u32_e32 v6, vcc, v4, v6
	v_subb_co_u32_e64 v9, s[2:3], v9, v15, vcc
	v_subrev_co_u32_e64 v15, s[2:3], s20, v6
	v_subbrev_co_u32_e64 v9, s[2:3], 0, v9, s[2:3]
	v_cmp_le_u32_e64 s[2:3], s21, v9
	v_cndmask_b32_e64 v16, 0, -1, s[2:3]
	v_cmp_le_u32_e64 s[2:3], s20, v15
	v_cndmask_b32_e64 v15, 0, -1, s[2:3]
	v_cmp_eq_u32_e64 s[2:3], s21, v9
	v_cndmask_b32_e64 v9, v16, v15, s[2:3]
	v_add_co_u32_e64 v15, s[2:3], 2, v3
	v_addc_co_u32_e64 v16, s[2:3], 0, v8, s[2:3]
	v_add_co_u32_e64 v17, s[2:3], 1, v3
	v_addc_co_u32_e64 v18, s[2:3], 0, v8, s[2:3]
	v_subb_co_u32_e32 v7, vcc, v5, v7, vcc
	v_cmp_ne_u32_e64 s[2:3], 0, v9
	v_cmp_le_u32_e32 vcc, s21, v7
	v_cndmask_b32_e64 v9, v18, v16, s[2:3]
	v_cndmask_b32_e64 v16, 0, -1, vcc
	v_cmp_le_u32_e32 vcc, s20, v6
	v_cndmask_b32_e64 v6, 0, -1, vcc
	v_cmp_eq_u32_e32 vcc, s21, v7
	v_cndmask_b32_e32 v6, v16, v6, vcc
	v_cmp_ne_u32_e32 vcc, 0, v6
	v_cndmask_b32_e64 v6, v17, v15, s[2:3]
	v_cndmask_b32_e32 v7, v8, v9, vcc
	v_cndmask_b32_e32 v6, v3, v6, vcc
.LBB0_36:                               ;   in Loop: Header=BB0_31 Depth=1
	s_andn2_saveexec_b64 s[2:3], s[4:5]
	s_cbranch_execz .LBB0_38
; %bb.37:                               ;   in Loop: Header=BB0_31 Depth=1
	v_cvt_f32_u32_e32 v3, s20
	v_rcp_iflag_f32_e32 v3, v3
	v_mul_f32_e32 v3, 0x4f7ffffe, v3
	v_cvt_u32_f32_e32 v3, v3
	v_mul_lo_u32 v6, s18, v3
	v_mul_hi_u32 v6, v3, v6
	v_add_u32_e32 v3, v3, v6
	v_mul_hi_u32 v3, v4, v3
	v_mul_lo_u32 v6, v3, s20
	v_add_u32_e32 v7, 1, v3
	v_sub_u32_e32 v6, v4, v6
	v_subrev_u32_e32 v8, s20, v6
	v_cmp_le_u32_e32 vcc, s20, v6
	v_cndmask_b32_e32 v6, v6, v8, vcc
	v_cndmask_b32_e32 v3, v3, v7, vcc
	v_add_u32_e32 v7, 1, v3
	v_cmp_le_u32_e32 vcc, s20, v6
	v_cndmask_b32_e32 v6, v3, v7, vcc
	v_mov_b32_e32 v7, v2
.LBB0_38:                               ;   in Loop: Header=BB0_31 Depth=1
	s_or_b64 exec, exec, s[2:3]
	v_or_b32_e32 v3, s11, v7
	v_cmp_ne_u64_e32 vcc, 0, v[2:3]
                                        ; implicit-def: $vgpr8_vgpr9
	s_and_saveexec_b64 s[2:3], vcc
	s_xor_b64 s[8:9], exec, s[2:3]
	s_cbranch_execz .LBB0_40
; %bb.39:                               ;   in Loop: Header=BB0_31 Depth=1
	v_cvt_f32_u32_e32 v3, s10
	v_cvt_f32_u32_e32 v8, s11
	s_sub_u32 s4, 0, s10
	s_subb_u32 s5, 0, s11
	v_mac_f32_e32 v3, 0x4f800000, v8
	v_rcp_f32_e32 v3, v3
	v_mul_f32_e32 v3, 0x5f7ffffc, v3
	v_mul_f32_e32 v8, 0x2f800000, v3
	v_trunc_f32_e32 v8, v8
	v_mac_f32_e32 v3, 0xcf800000, v8
	v_cvt_u32_f32_e32 v8, v8
	v_cvt_u32_f32_e32 v3, v3
	v_readfirstlane_b32 s19, v8
	v_readfirstlane_b32 s2, v3
	s_mul_i32 s3, s4, s19
	s_mul_hi_u32 s28, s4, s2
	s_mul_i32 s27, s5, s2
	s_add_i32 s3, s28, s3
	s_mul_i32 s29, s4, s2
	s_add_i32 s3, s3, s27
	s_mul_i32 s28, s2, s3
	s_mul_hi_u32 s30, s2, s29
	s_mul_hi_u32 s27, s2, s3
	s_add_u32 s28, s30, s28
	s_addc_u32 s27, 0, s27
	s_mul_hi_u32 s31, s19, s29
	s_mul_i32 s29, s19, s29
	s_add_u32 s28, s28, s29
	s_mul_hi_u32 s30, s19, s3
	s_addc_u32 s27, s27, s31
	s_addc_u32 s28, s30, 0
	s_mul_i32 s3, s19, s3
	s_add_u32 s3, s27, s3
	s_addc_u32 s27, 0, s28
	s_add_u32 s28, s2, s3
	s_cselect_b64 s[2:3], -1, 0
	s_cmp_lg_u64 s[2:3], 0
	s_addc_u32 s19, s19, s27
	s_mul_i32 s2, s4, s19
	s_mul_hi_u32 s3, s4, s28
	s_add_i32 s2, s3, s2
	s_mul_i32 s5, s5, s28
	s_add_i32 s2, s2, s5
	s_mul_i32 s4, s4, s28
	s_mul_hi_u32 s5, s19, s4
	s_mul_i32 s27, s19, s4
	s_mul_i32 s30, s28, s2
	s_mul_hi_u32 s4, s28, s4
	s_mul_hi_u32 s29, s28, s2
	s_add_u32 s4, s4, s30
	s_addc_u32 s29, 0, s29
	s_add_u32 s4, s4, s27
	s_mul_hi_u32 s3, s19, s2
	s_addc_u32 s4, s29, s5
	s_addc_u32 s3, s3, 0
	s_mul_i32 s2, s19, s2
	s_add_u32 s2, s4, s2
	s_addc_u32 s4, 0, s3
	s_add_u32 s5, s28, s2
	s_cselect_b64 s[2:3], -1, 0
	s_cmp_lg_u64 s[2:3], 0
	s_addc_u32 s4, s19, s4
	v_mad_u64_u32 v[8:9], s[2:3], v6, s4, 0
	v_mul_hi_u32 v3, v6, s5
	v_mad_u64_u32 v[15:16], s[2:3], v7, s4, 0
	v_add_co_u32_e32 v3, vcc, v3, v8
	v_addc_co_u32_e32 v17, vcc, 0, v9, vcc
	v_mad_u64_u32 v[8:9], s[2:3], v7, s5, 0
	v_add_co_u32_e32 v3, vcc, v3, v8
	v_addc_co_u32_e32 v3, vcc, v17, v9, vcc
	v_addc_co_u32_e32 v8, vcc, 0, v16, vcc
	v_add_co_u32_e32 v3, vcc, v3, v15
	v_addc_co_u32_e32 v8, vcc, 0, v8, vcc
	v_mul_lo_u32 v15, s11, v3
	v_mul_lo_u32 v16, s10, v8
	v_mad_u64_u32 v[8:9], s[2:3], s10, v3, 0
	v_add3_u32 v3, v9, v16, v15
	v_sub_u32_e32 v9, v7, v3
	v_mov_b32_e32 v15, s11
	v_sub_co_u32_e32 v6, vcc, v6, v8
	v_subb_co_u32_e64 v8, s[2:3], v9, v15, vcc
	v_subrev_co_u32_e64 v16, s[2:3], s10, v6
	v_subbrev_co_u32_e64 v9, s[4:5], 0, v8, s[2:3]
	v_cmp_le_u32_e64 s[4:5], s11, v9
	v_cndmask_b32_e64 v17, 0, -1, s[4:5]
	v_cmp_le_u32_e64 s[4:5], s10, v16
	v_subb_co_u32_e64 v8, s[2:3], v8, v15, s[2:3]
	v_cndmask_b32_e64 v18, 0, -1, s[4:5]
	v_cmp_eq_u32_e64 s[4:5], s11, v9
	v_subrev_co_u32_e64 v15, s[2:3], s10, v16
	v_subb_co_u32_e32 v3, vcc, v7, v3, vcc
	v_cndmask_b32_e64 v17, v17, v18, s[4:5]
	v_subbrev_co_u32_e64 v8, s[2:3], 0, v8, s[2:3]
	v_cmp_le_u32_e32 vcc, s11, v3
	v_cmp_ne_u32_e64 s[2:3], 0, v17
	v_cndmask_b32_e64 v7, 0, -1, vcc
	v_cmp_le_u32_e32 vcc, s10, v6
	v_cndmask_b32_e64 v8, v9, v8, s[2:3]
	v_cndmask_b32_e64 v9, 0, -1, vcc
	v_cmp_eq_u32_e32 vcc, s11, v3
	v_cndmask_b32_e32 v7, v7, v9, vcc
	v_cmp_ne_u32_e32 vcc, 0, v7
	v_cndmask_b32_e32 v9, v3, v8, vcc
	v_cndmask_b32_e64 v3, v16, v15, s[2:3]
	v_cndmask_b32_e32 v8, v6, v3, vcc
                                        ; implicit-def: $vgpr6_vgpr7
.LBB0_40:                               ;   in Loop: Header=BB0_31 Depth=1
	s_andn2_saveexec_b64 s[2:3], s[8:9]
	s_cbranch_execz .LBB0_42
; %bb.41:                               ;   in Loop: Header=BB0_31 Depth=1
	v_cvt_f32_u32_e32 v3, s10
	s_sub_i32 s4, 0, s10
	v_mov_b32_e32 v9, v2
	v_rcp_iflag_f32_e32 v3, v3
	v_mul_f32_e32 v3, 0x4f7ffffe, v3
	v_cvt_u32_f32_e32 v3, v3
	v_mul_lo_u32 v7, s4, v3
	v_mul_hi_u32 v7, v3, v7
	v_add_u32_e32 v3, v3, v7
	v_mul_hi_u32 v3, v6, v3
	v_mul_lo_u32 v3, v3, s10
	v_sub_u32_e32 v3, v6, v3
	v_subrev_u32_e32 v6, s10, v3
	v_cmp_le_u32_e32 vcc, s10, v3
	v_cndmask_b32_e32 v3, v3, v6, vcc
	v_subrev_u32_e32 v6, s10, v3
	v_cmp_le_u32_e32 vcc, s10, v3
	v_cndmask_b32_e32 v8, v3, v6, vcc
.LBB0_42:                               ;   in Loop: Header=BB0_31 Depth=1
	s_or_b64 exec, exec, s[2:3]
	v_lshlrev_b64 v[6:7], 2, v[8:9]
	s_and_b64 vcc, exec, s[0:1]
	v_mov_b32_e32 v3, 1.0
	s_cbranch_vccnz .LBB0_33
.LBB0_43:                               ;   in Loop: Header=BB0_31 Depth=1
	v_mov_b32_e32 v3, s13
	v_add_co_u32_e32 v8, vcc, s12, v6
	v_addc_co_u32_e32 v9, vcc, v3, v7, vcc
	global_load_dword v3, v[8:9], off
	s_and_b64 vcc, exec, s[0:1]
	v_mov_b32_e32 v8, 0
	s_cbranch_vccnz .LBB0_30
.LBB0_44:                               ;   in Loop: Header=BB0_31 Depth=1
	v_mov_b32_e32 v8, s15
	v_add_co_u32_e32 v6, vcc, s14, v6
	v_addc_co_u32_e32 v7, vcc, v8, v7, vcc
	global_load_dword v8, v[6:7], off
	s_branch .LBB0_30
.LBB0_45:
	s_endpgm
.LBB0_46:
                                        ; implicit-def: $sgpr22_sgpr23
	s_load_dwordx2 s[24:25], s[4:5], 0x0
	s_branch .LBB0_2
	.section	.rodata,"a",@progbits
	.p2align	6, 0x0
	.amdhsa_kernel GroupNormFwdContiguous
		.amdhsa_group_segment_fixed_size 2048
		.amdhsa_private_segment_fixed_size 0
		.amdhsa_kernarg_size 84
		.amdhsa_user_sgpr_count 6
		.amdhsa_user_sgpr_private_segment_buffer 1
		.amdhsa_user_sgpr_dispatch_ptr 0
		.amdhsa_user_sgpr_queue_ptr 0
		.amdhsa_user_sgpr_kernarg_segment_ptr 1
		.amdhsa_user_sgpr_dispatch_id 0
		.amdhsa_user_sgpr_flat_scratch_init 0
		.amdhsa_user_sgpr_private_segment_size 0
		.amdhsa_uses_dynamic_stack 0
		.amdhsa_system_sgpr_private_segment_wavefront_offset 0
		.amdhsa_system_sgpr_workgroup_id_x 1
		.amdhsa_system_sgpr_workgroup_id_y 0
		.amdhsa_system_sgpr_workgroup_id_z 0
		.amdhsa_system_sgpr_workgroup_info 0
		.amdhsa_system_vgpr_workitem_id 0
		.amdhsa_next_free_vgpr 29
		.amdhsa_next_free_sgpr 61
		.amdhsa_reserve_vcc 1
		.amdhsa_reserve_flat_scratch 0
		.amdhsa_float_round_mode_32 0
		.amdhsa_float_round_mode_16_64 0
		.amdhsa_float_denorm_mode_32 3
		.amdhsa_float_denorm_mode_16_64 3
		.amdhsa_dx10_clamp 1
		.amdhsa_ieee_mode 1
		.amdhsa_fp16_overflow 0
		.amdhsa_exception_fp_ieee_invalid_op 0
		.amdhsa_exception_fp_denorm_src 0
		.amdhsa_exception_fp_ieee_div_zero 0
		.amdhsa_exception_fp_ieee_overflow 0
		.amdhsa_exception_fp_ieee_underflow 0
		.amdhsa_exception_fp_ieee_inexact 0
		.amdhsa_exception_int_div_zero 0
	.end_amdhsa_kernel
	.text
.Lfunc_end0:
	.size	GroupNormFwdContiguous, .Lfunc_end0-GroupNormFwdContiguous
                                        ; -- End function
	.set GroupNormFwdContiguous.num_vgpr, 19
	.set GroupNormFwdContiguous.num_agpr, 0
	.set GroupNormFwdContiguous.numbered_sgpr, 34
	.set GroupNormFwdContiguous.num_named_barrier, 0
	.set GroupNormFwdContiguous.private_seg_size, 0
	.set GroupNormFwdContiguous.uses_vcc, 1
	.set GroupNormFwdContiguous.uses_flat_scratch, 0
	.set GroupNormFwdContiguous.has_dyn_sized_stack, 0
	.set GroupNormFwdContiguous.has_recursion, 0
	.set GroupNormFwdContiguous.has_indirect_call, 0
	.section	.AMDGPU.csdata,"",@progbits
; Kernel info:
; codeLenInByte = 3484
; TotalNumSgprs: 38
; NumVgprs: 19
; ScratchSize: 0
; MemoryBound: 0
; FloatMode: 240
; IeeeMode: 1
; LDSByteSize: 2048 bytes/workgroup (compile time only)
; SGPRBlocks: 8
; VGPRBlocks: 7
; NumSGPRsForWavesPerEU: 65
; NumVGPRsForWavesPerEU: 29
; Occupancy: 8
; WaveLimiterHint : 0
; COMPUTE_PGM_RSRC2:SCRATCH_EN: 0
; COMPUTE_PGM_RSRC2:USER_SGPR: 6
; COMPUTE_PGM_RSRC2:TRAP_HANDLER: 0
; COMPUTE_PGM_RSRC2:TGID_X_EN: 1
; COMPUTE_PGM_RSRC2:TGID_Y_EN: 0
; COMPUTE_PGM_RSRC2:TGID_Z_EN: 0
; COMPUTE_PGM_RSRC2:TIDIG_COMP_CNT: 0
	.section	.AMDGPU.gpr_maximums,"",@progbits
	.set amdgpu.max_num_vgpr, 0
	.set amdgpu.max_num_agpr, 0
	.set amdgpu.max_num_sgpr, 0
	.section	.AMDGPU.csdata,"",@progbits
	.type	__hip_cuid_40a2785d791ff018,@object ; @__hip_cuid_40a2785d791ff018
	.section	.bss,"aw",@nobits
	.globl	__hip_cuid_40a2785d791ff018
__hip_cuid_40a2785d791ff018:
	.byte	0                               ; 0x0
	.size	__hip_cuid_40a2785d791ff018, 1

	.ident	"AMD clang version 22.0.0git (https://github.com/RadeonOpenCompute/llvm-project roc-7.2.4 26084 f58b06dce1f9c15707c5f808fd002e18c2accf7e)"
	.section	".note.GNU-stack","",@progbits
	.addrsig
	.addrsig_sym __hip_cuid_40a2785d791ff018
	.amdgpu_metadata
---
amdhsa.kernels:
  - .args:
      - .actual_access:  read_only
        .address_space:  global
        .offset:         0
        .size:           8
        .value_kind:     global_buffer
      - .actual_access:  read_only
        .address_space:  global
        .offset:         8
        .size:           8
        .value_kind:     global_buffer
      - .actual_access:  read_only
        .address_space:  global
        .offset:         16
        .size:           8
        .value_kind:     global_buffer
      - .actual_access:  write_only
        .address_space:  global
        .offset:         24
        .size:           8
        .value_kind:     global_buffer
      - .actual_access:  write_only
        .address_space:  global
        .offset:         32
        .size:           8
        .value_kind:     global_buffer
      - .actual_access:  write_only
        .address_space:  global
        .offset:         40
        .size:           8
        .value_kind:     global_buffer
      - .offset:         48
        .size:           4
        .value_kind:     by_value
      - .offset:         56
        .size:           8
        .value_kind:     by_value
      - .offset:         64
        .size:           8
        .value_kind:     by_value
      - .offset:         72
        .size:           8
        .value_kind:     by_value
      - .offset:         80
        .size:           1
        .value_kind:     by_value
    .group_segment_fixed_size: 2048
    .kernarg_segment_align: 8
    .kernarg_segment_size: 84
    .language:       OpenCL C
    .language_version:
      - 2
      - 0
    .max_flat_workgroup_size: 1024
    .name:           GroupNormFwdContiguous
    .private_segment_fixed_size: 0
    .sgpr_count:     38
    .sgpr_spill_count: 0
    .symbol:         GroupNormFwdContiguous.kd
    .uniform_work_group_size: 1
    .uses_dynamic_stack: false
    .vgpr_count:     19
    .vgpr_spill_count: 0
    .wavefront_size: 64
amdhsa.target:   amdgcn-amd-amdhsa--gfx906
amdhsa.version:
  - 1
  - 2
...

	.end_amdgpu_metadata
